;; amdgpu-corpus repo=ROCm/rocFFT kind=compiled arch=gfx1030 opt=O3
	.text
	.amdgcn_target "amdgcn-amd-amdhsa--gfx1030"
	.amdhsa_code_object_version 6
	.protected	bluestein_single_fwd_len324_dim1_dp_op_CI_CI ; -- Begin function bluestein_single_fwd_len324_dim1_dp_op_CI_CI
	.globl	bluestein_single_fwd_len324_dim1_dp_op_CI_CI
	.p2align	8
	.type	bluestein_single_fwd_len324_dim1_dp_op_CI_CI,@function
bluestein_single_fwd_len324_dim1_dp_op_CI_CI: ; @bluestein_single_fwd_len324_dim1_dp_op_CI_CI
; %bb.0:
	s_load_dwordx4 s[16:19], s[4:5], 0x28
	v_mul_u32_u24_e32 v1, 0x4be, v0
	v_mov_b32_e32 v81, 0
	s_mov_b32 s0, exec_lo
	v_lshrrev_b32_e32 v1, 16, v1
	v_add_nc_u32_e32 v80, s6, v1
	s_waitcnt lgkmcnt(0)
	v_cmpx_gt_u64_e64 s[16:17], v[80:81]
	s_cbranch_execz .LBB0_2
; %bb.1:
	s_clause 0x1
	s_load_dwordx4 s[0:3], s[4:5], 0x18
	s_load_dwordx4 s[8:11], s[4:5], 0x0
	v_mul_lo_u16 v1, v1, 54
	s_mov_b32 s7, 0xbfebb67a
	v_sub_nc_u16 v40, v0, v1
	v_and_b32_e32 v83, 0xffff, v40
	v_and_b32_e32 v79, 0xff, v40
	v_lshlrev_b32_e32 v84, 4, v83
	s_waitcnt lgkmcnt(0)
	s_load_dwordx4 s[12:15], s[0:1], 0x0
	s_waitcnt lgkmcnt(0)
	v_mad_u64_u32 v[4:5], null, s14, v80, 0
	v_mad_u64_u32 v[12:13], null, s12, v83, 0
	s_mul_i32 s0, s13, 0x6c0
	s_mul_hi_u32 s1, s12, 0x6c0
	s_mul_i32 s6, s12, 0x6c0
	s_add_i32 s1, s1, s0
	v_mov_b32_e32 v0, v5
	v_add_co_u32 v85, s0, s8, v84
	v_mov_b32_e32 v1, v13
	v_add_co_ci_u32_e64 v86, null, s9, 0, s0
	s_mul_i32 s0, s13, 0xfffff5e0
	v_mad_u64_u32 v[2:3], null, s15, v80, v[0:1]
	s_sub_i32 s0, s0, s12
	v_mad_u64_u32 v[6:7], null, s13, v83, v[1:2]
	v_mov_b32_e32 v5, v2
	global_load_dwordx4 v[0:3], v84, s[8:9] offset:1728
	v_lshlrev_b64 v[14:15], 4, v[4:5]
	v_mov_b32_e32 v13, v6
	s_clause 0x1
	global_load_dwordx4 v[4:7], v84, s[8:9]
	global_load_dwordx4 v[8:11], v84, s[8:9] offset:864
	s_mov_b32 s8, 0xe8584caa
	s_mov_b32 s9, 0x3febb67a
	v_lshlrev_b64 v[12:13], 4, v[12:13]
	v_add_co_u32 v14, vcc_lo, s18, v14
	v_add_co_ci_u32_e32 v15, vcc_lo, s19, v15, vcc_lo
	v_add_co_u32 v16, vcc_lo, v14, v12
	v_add_co_ci_u32_e32 v17, vcc_lo, v15, v13, vcc_lo
	;; [unrolled: 2-line block ×3, first 2 shown]
	global_load_dwordx4 v[24:27], v[16:17], off
	v_add_co_u32 v20, vcc_lo, v18, s6
	v_add_co_ci_u32_e32 v21, vcc_lo, s1, v19, vcc_lo
	v_add_co_u32 v22, vcc_lo, 0x800, v85
	v_add_co_ci_u32_e32 v23, vcc_lo, 0, v86, vcc_lo
	v_mad_u64_u32 v[36:37], null, 0xfffff5e0, s12, v[20:21]
	v_add_co_u32 v81, vcc_lo, 0x1000, v85
	v_add_co_ci_u32_e32 v82, vcc_lo, 0, v86, vcc_lo
	global_load_dwordx4 v[12:15], v[22:23], off offset:1408
	s_clause 0x1
	global_load_dwordx4 v[28:31], v[18:19], off
	global_load_dwordx4 v[32:35], v[20:21], off
	v_add_nc_u32_e32 v37, s0, v37
	v_add_co_u32 v41, vcc_lo, v36, s6
	v_add_co_ci_u32_e32 v42, vcc_lo, s1, v37, vcc_lo
	v_add_co_u32 v45, vcc_lo, v41, s6
	s_mov_b32 s6, s8
	v_add_co_ci_u32_e32 v46, vcc_lo, s1, v42, vcc_lo
	global_load_dwordx4 v[36:39], v[36:37], off
	global_load_dwordx4 v[16:19], v[22:23], off offset:544
	global_load_dwordx4 v[41:44], v[41:42], off
	global_load_dwordx4 v[20:23], v[81:82], off offset:224
	global_load_dwordx4 v[45:48], v[45:46], off
	s_load_dwordx4 s[0:3], s[2:3], 0x0
	s_waitcnt vmcnt(8)
	v_mul_f64 v[49:50], v[26:27], v[6:7]
	v_mul_f64 v[51:52], v[24:25], v[6:7]
	s_waitcnt vmcnt(6)
	v_mul_f64 v[53:54], v[30:31], v[2:3]
	v_mul_f64 v[55:56], v[28:29], v[2:3]
	s_waitcnt vmcnt(5)
	v_mul_f64 v[57:58], v[34:35], v[14:15]
	v_mul_f64 v[59:60], v[32:33], v[14:15]
	v_fma_f64 v[24:25], v[24:25], v[4:5], v[49:50]
	v_fma_f64 v[26:27], v[26:27], v[4:5], -v[51:52]
	s_waitcnt vmcnt(4)
	v_mul_f64 v[61:62], v[38:39], v[10:11]
	v_mul_f64 v[63:64], v[36:37], v[10:11]
	s_waitcnt vmcnt(2)
	v_mul_f64 v[65:66], v[43:44], v[18:19]
	v_mul_f64 v[67:68], v[41:42], v[18:19]
	;; [unrolled: 3-line block ×3, first 2 shown]
	v_fma_f64 v[28:29], v[28:29], v[0:1], v[53:54]
	v_fma_f64 v[30:31], v[30:31], v[0:1], -v[55:56]
	v_fma_f64 v[32:33], v[32:33], v[12:13], v[57:58]
	v_fma_f64 v[34:35], v[34:35], v[12:13], -v[59:60]
	;; [unrolled: 2-line block ×5, first 2 shown]
	v_add_nc_u32_e32 v68, 54, v83
	ds_write_b128 v84, v[24:27]
	ds_write_b128 v84, v[28:31] offset:1728
	ds_write_b128 v84, v[32:35] offset:3456
	;; [unrolled: 1-line block ×5, first 2 shown]
	s_waitcnt lgkmcnt(0)
	s_barrier
	buffer_gl0_inv
	ds_read_b128 v[24:27], v84 offset:3456
	ds_read_b128 v[28:31], v84 offset:1728
	;; [unrolled: 1-line block ×4, first 2 shown]
	ds_read_b128 v[41:44], v84
	ds_read_b128 v[45:48], v84 offset:864
	s_waitcnt lgkmcnt(0)
	s_barrier
	buffer_gl0_inv
	v_add_f64 v[49:50], v[28:29], v[24:25]
	v_add_f64 v[51:52], v[30:31], v[26:27]
	v_add_f64 v[53:54], v[32:33], v[36:37]
	v_add_f64 v[55:56], v[34:35], v[38:39]
	v_add_f64 v[57:58], v[41:42], v[28:29]
	v_add_f64 v[59:60], v[43:44], v[30:31]
	v_add_f64 v[61:62], v[30:31], -v[26:27]
	v_add_f64 v[30:31], v[45:46], v[32:33]
	v_add_f64 v[63:64], v[47:48], v[34:35]
	v_fma_f64 v[41:42], v[49:50], -0.5, v[41:42]
	v_add_f64 v[49:50], v[28:29], -v[24:25]
	v_fma_f64 v[43:44], v[51:52], -0.5, v[43:44]
	v_add_f64 v[51:52], v[34:35], -v[38:39]
	;; [unrolled: 2-line block ×3, first 2 shown]
	v_fma_f64 v[47:48], v[55:56], -0.5, v[47:48]
	v_mul_lo_u16 v28, 0xab, v79
	v_add_f64 v[24:25], v[57:58], v[24:25]
	v_add_f64 v[26:27], v[59:60], v[26:27]
	v_lshrrev_b16 v99, 9, v28
	v_add_f64 v[28:29], v[30:31], v[36:37]
	v_add_f64 v[30:31], v[63:64], v[38:39]
	v_mul_lo_u16 v55, v99, 3
	v_fma_f64 v[32:33], v[61:62], s[8:9], v[41:42]
	v_fma_f64 v[36:37], v[61:62], s[6:7], v[41:42]
	;; [unrolled: 1-line block ×5, first 2 shown]
	v_sub_nc_u16 v49, v40, v55
	v_fma_f64 v[43:44], v[53:54], s[6:7], v[47:48]
	v_fma_f64 v[45:46], v[51:52], s[6:7], v[45:46]
	;; [unrolled: 1-line block ×3, first 2 shown]
	v_mov_b32_e32 v50, 4
	v_mul_lo_u16 v51, v40, 3
	v_and_b32_e32 v100, 0xff, v49
	v_mul_u32_u24_e32 v52, 3, v68
	v_lshlrev_b32_sdwa v88, v50, v51 dst_sel:DWORD dst_unused:UNUSED_PAD src0_sel:DWORD src1_sel:WORD_0
	v_mad_u64_u32 v[49:50], null, 0x50, v100, s[10:11]
	v_lshlrev_b32_e32 v87, 4, v52
	ds_write_b128 v88, v[24:27]
	ds_write_b128 v88, v[32:35] offset:16
	ds_write_b128 v88, v[36:39] offset:32
	ds_write_b128 v87, v[28:31]
	ds_write_b128 v87, v[41:44] offset:16
	ds_write_b128 v87, v[45:48] offset:32
	s_waitcnt lgkmcnt(0)
	s_barrier
	buffer_gl0_inv
	s_clause 0x4
	global_load_dwordx4 v[36:39], v[49:50], off offset:32
	global_load_dwordx4 v[44:47], v[49:50], off offset:64
	global_load_dwordx4 v[32:35], v[49:50], off
	global_load_dwordx4 v[28:31], v[49:50], off offset:16
	global_load_dwordx4 v[24:27], v[49:50], off offset:48
	ds_read_b128 v[48:51], v84 offset:2592
	ds_read_b128 v[52:55], v84 offset:4320
	;; [unrolled: 1-line block ×5, first 2 shown]
	ds_read_b128 v[69:72], v84
	v_mul_lo_u16 v43, v79, 57
	s_waitcnt vmcnt(0) lgkmcnt(0)
	s_barrier
	buffer_gl0_inv
	v_lshrrev_b16 v79, 10, v43
	v_mul_lo_u16 v43, v79, 18
	v_sub_nc_u16 v40, v40, v43
	v_mul_f64 v[41:42], v[50:51], v[38:39]
	v_mul_f64 v[73:74], v[48:49], v[38:39]
	;; [unrolled: 1-line block ×6, first 2 shown]
	v_fma_f64 v[41:42], v[48:49], v[36:37], -v[41:42]
	v_fma_f64 v[48:49], v[50:51], v[36:37], v[73:74]
	v_fma_f64 v[50:51], v[54:55], v[44:45], v[75:76]
	v_fma_f64 v[52:53], v[52:53], v[44:45], -v[77:78]
	v_mul_f64 v[54:55], v[58:59], v[30:31]
	v_mul_f64 v[73:74], v[56:57], v[30:31]
	;; [unrolled: 1-line block ×4, first 2 shown]
	v_fma_f64 v[64:65], v[64:65], v[32:33], -v[89:90]
	v_fma_f64 v[66:67], v[66:67], v[32:33], v[91:92]
	v_add_f64 v[89:90], v[48:49], v[50:51]
	v_add_f64 v[91:92], v[41:42], v[52:53]
	v_fma_f64 v[54:55], v[56:57], v[28:29], -v[54:55]
	v_fma_f64 v[56:57], v[58:59], v[28:29], v[73:74]
	v_fma_f64 v[58:59], v[60:61], v[24:25], -v[75:76]
	v_fma_f64 v[60:61], v[62:63], v[24:25], v[77:78]
	v_add_f64 v[62:63], v[41:42], -v[52:53]
	v_add_f64 v[73:74], v[48:49], -v[50:51]
	v_add_f64 v[41:42], v[64:65], v[41:42]
	v_add_f64 v[48:49], v[66:67], v[48:49]
	v_fma_f64 v[75:76], v[89:90], -0.5, v[66:67]
	v_fma_f64 v[77:78], v[91:92], -0.5, v[64:65]
	v_add_f64 v[89:90], v[54:55], v[58:59]
	v_add_f64 v[91:92], v[56:57], v[60:61]
	;; [unrolled: 1-line block ×3, first 2 shown]
	v_fma_f64 v[93:94], v[62:63], s[6:7], v[75:76]
	v_fma_f64 v[95:96], v[73:74], s[8:9], v[77:78]
	;; [unrolled: 1-line block ×4, first 2 shown]
	v_add_f64 v[75:76], v[69:70], v[54:55]
	v_add_f64 v[77:78], v[71:72], v[56:57]
	v_add_f64 v[56:57], v[56:57], -v[60:61]
	v_add_f64 v[54:55], v[54:55], -v[58:59]
	v_fma_f64 v[64:65], v[89:90], -0.5, v[69:70]
	v_fma_f64 v[66:67], v[91:92], -0.5, v[71:72]
	v_mul_f64 v[69:70], v[93:94], s[8:9]
	v_mul_f64 v[71:72], v[95:96], s[6:7]
	v_mul_f64 v[89:90], v[73:74], -0.5
	v_mul_f64 v[91:92], v[62:63], -0.5
	v_add_f64 v[58:59], v[75:76], v[58:59]
	v_add_f64 v[60:61], v[77:78], v[60:61]
	;; [unrolled: 1-line block ×3, first 2 shown]
	v_fma_f64 v[77:78], v[56:57], s[8:9], v[64:65]
	v_fma_f64 v[97:98], v[54:55], s[6:7], v[66:67]
	v_fma_f64 v[69:70], v[95:96], 0.5, v[69:70]
	v_fma_f64 v[71:72], v[93:94], 0.5, v[71:72]
	v_fma_f64 v[93:94], v[56:57], s[6:7], v[64:65]
	v_fma_f64 v[95:96], v[54:55], s[8:9], v[66:67]
	;; [unrolled: 1-line block ×4, first 2 shown]
	v_add_f64 v[48:49], v[58:59], v[41:42]
	v_add_f64 v[50:51], v[60:61], v[75:76]
	v_add_f64 v[52:53], v[58:59], -v[41:42]
	v_add_f64 v[54:55], v[60:61], -v[75:76]
	v_mov_b32_e32 v41, 18
	v_mul_u32_u24_sdwa v41, v99, v41 dst_sel:DWORD dst_unused:UNUSED_PAD src0_sel:WORD_0 src1_sel:DWORD
	v_add_f64 v[56:57], v[77:78], v[69:70]
	v_add_f64 v[58:59], v[97:98], v[71:72]
	v_add_f64 v[60:61], v[77:78], -v[69:70]
	v_add_f64 v[62:63], v[97:98], -v[71:72]
	v_add_f64 v[64:65], v[93:94], v[89:90]
	v_add_f64 v[66:67], v[95:96], v[73:74]
	v_add_f64 v[69:70], v[93:94], -v[89:90]
	v_add_f64 v[71:72], v[95:96], -v[73:74]
	v_and_b32_e32 v89, 0xff, v40
	v_add_lshl_u32 v90, v41, v100, 4
	ds_write_b128 v90, v[48:51]
	ds_write_b128 v90, v[52:55] offset:144
	ds_write_b128 v90, v[56:59] offset:48
	;; [unrolled: 1-line block ×5, first 2 shown]
	v_mad_u64_u32 v[73:74], null, 0x50, v89, s[10:11]
	s_waitcnt lgkmcnt(0)
	s_barrier
	buffer_gl0_inv
	s_clause 0x4
	global_load_dwordx4 v[40:43], v[73:74], off offset:272
	global_load_dwordx4 v[60:63], v[73:74], off offset:304
	;; [unrolled: 1-line block ×5, first 2 shown]
	ds_read_b128 v[64:67], v84 offset:2592
	ds_read_b128 v[69:72], v84 offset:4320
	;; [unrolled: 1-line block ×5, first 2 shown]
	ds_read_b128 v[99:102], v84
	s_waitcnt vmcnt(0) lgkmcnt(0)
	s_barrier
	buffer_gl0_inv
	v_mul_f64 v[77:78], v[66:67], v[42:43]
	v_mul_f64 v[103:104], v[64:65], v[42:43]
	;; [unrolled: 1-line block ×6, first 2 shown]
	v_fma_f64 v[64:65], v[64:65], v[40:41], -v[77:78]
	v_fma_f64 v[66:67], v[66:67], v[40:41], v[103:104]
	v_fma_f64 v[71:72], v[71:72], v[60:61], v[105:106]
	v_fma_f64 v[69:70], v[69:70], v[60:61], -v[107:108]
	v_mul_f64 v[77:78], v[93:94], v[54:55]
	v_mul_f64 v[103:104], v[91:92], v[54:55]
	;; [unrolled: 1-line block ×4, first 2 shown]
	v_fma_f64 v[73:74], v[73:74], v[56:57], -v[109:110]
	v_fma_f64 v[75:76], v[75:76], v[56:57], v[111:112]
	v_add_f64 v[109:110], v[66:67], v[71:72]
	v_add_f64 v[111:112], v[64:65], v[69:70]
	v_fma_f64 v[77:78], v[91:92], v[52:53], -v[77:78]
	v_fma_f64 v[91:92], v[93:94], v[52:53], v[103:104]
	v_fma_f64 v[93:94], v[95:96], v[48:49], -v[105:106]
	v_fma_f64 v[95:96], v[97:98], v[48:49], v[107:108]
	v_add_f64 v[97:98], v[64:65], -v[69:70]
	v_add_f64 v[103:104], v[66:67], -v[71:72]
	v_add_f64 v[64:65], v[73:74], v[64:65]
	v_add_f64 v[66:67], v[75:76], v[66:67]
	v_fma_f64 v[105:106], v[109:110], -0.5, v[75:76]
	v_fma_f64 v[107:108], v[111:112], -0.5, v[73:74]
	v_add_f64 v[109:110], v[77:78], v[93:94]
	v_add_f64 v[111:112], v[91:92], v[95:96]
	v_add_f64 v[73:74], v[91:92], -v[95:96]
	v_add_f64 v[75:76], v[77:78], -v[93:94]
	v_add_f64 v[69:70], v[64:65], v[69:70]
	v_add_f64 v[71:72], v[66:67], v[71:72]
	v_fma_f64 v[113:114], v[97:98], s[6:7], v[105:106]
	v_fma_f64 v[115:116], v[103:104], s[8:9], v[107:108]
	;; [unrolled: 1-line block ×4, first 2 shown]
	v_add_f64 v[105:106], v[99:100], v[77:78]
	v_add_f64 v[107:108], v[101:102], v[91:92]
	v_fma_f64 v[77:78], v[109:110], -0.5, v[99:100]
	v_fma_f64 v[91:92], v[111:112], -0.5, v[101:102]
	v_mul_f64 v[99:100], v[113:114], s[8:9]
	v_mul_f64 v[101:102], v[115:116], s[6:7]
	v_mul_f64 v[109:110], v[103:104], -0.5
	v_mul_f64 v[111:112], v[97:98], -0.5
	v_add_f64 v[93:94], v[105:106], v[93:94]
	v_add_f64 v[95:96], v[107:108], v[95:96]
	v_fma_f64 v[105:106], v[73:74], s[8:9], v[77:78]
	v_fma_f64 v[107:108], v[75:76], s[6:7], v[91:92]
	;; [unrolled: 1-line block ×3, first 2 shown]
	v_fma_f64 v[99:100], v[115:116], 0.5, v[99:100]
	v_fma_f64 v[101:102], v[113:114], 0.5, v[101:102]
	v_fma_f64 v[113:114], v[75:76], s[8:9], v[91:92]
	v_fma_f64 v[109:110], v[97:98], s[8:9], v[109:110]
	;; [unrolled: 1-line block ×3, first 2 shown]
	v_add_f64 v[64:65], v[93:94], v[69:70]
	v_add_f64 v[66:67], v[95:96], v[71:72]
	v_add_f64 v[69:70], v[93:94], -v[69:70]
	v_add_f64 v[71:72], v[95:96], -v[71:72]
	v_add_f64 v[73:74], v[105:106], v[99:100]
	v_add_f64 v[75:76], v[107:108], v[101:102]
	v_add_f64 v[91:92], v[105:106], -v[99:100]
	v_add_f64 v[95:96], v[77:78], v[109:110]
	v_add_f64 v[97:98], v[113:114], v[103:104]
	v_add_f64 v[93:94], v[107:108], -v[101:102]
	v_add_f64 v[99:100], v[77:78], -v[109:110]
	;; [unrolled: 1-line block ×3, first 2 shown]
	v_mov_b32_e32 v77, 0x6c
	v_mul_u32_u24_sdwa v77, v79, v77 dst_sel:DWORD dst_unused:UNUSED_PAD src0_sel:WORD_0 src1_sel:DWORD
	v_add_lshl_u32 v89, v77, v89, 4
	v_lshlrev_b32_e32 v77, 5, v83
	ds_write_b128 v89, v[64:67]
	ds_write_b128 v89, v[69:72] offset:864
	ds_write_b128 v89, v[73:76] offset:288
	;; [unrolled: 1-line block ×5, first 2 shown]
	s_waitcnt lgkmcnt(0)
	s_barrier
	buffer_gl0_inv
	s_clause 0x1
	global_load_dwordx4 v[64:67], v77, s[10:11] offset:1680
	global_load_dwordx4 v[72:75], v77, s[10:11] offset:1696
	v_lshlrev_b32_e32 v76, 5, v68
	s_clause 0x1
	global_load_dwordx4 v[68:71], v76, s[10:11] offset:1680
	global_load_dwordx4 v[76:79], v76, s[10:11] offset:1696
	ds_read_b128 v[91:94], v84 offset:1728
	ds_read_b128 v[95:98], v84 offset:3456
	;; [unrolled: 1-line block ×4, first 2 shown]
	s_waitcnt vmcnt(3) lgkmcnt(3)
	v_mul_f64 v[107:108], v[93:94], v[66:67]
	s_waitcnt vmcnt(2) lgkmcnt(2)
	v_mul_f64 v[109:110], v[97:98], v[74:75]
	v_mul_f64 v[111:112], v[91:92], v[66:67]
	;; [unrolled: 1-line block ×3, first 2 shown]
	s_waitcnt vmcnt(1) lgkmcnt(1)
	v_mul_f64 v[115:116], v[101:102], v[70:71]
	v_mul_f64 v[117:118], v[99:100], v[70:71]
	v_fma_f64 v[107:108], v[91:92], v[64:65], -v[107:108]
	v_fma_f64 v[109:110], v[95:96], v[72:73], -v[109:110]
	v_fma_f64 v[111:112], v[93:94], v[64:65], v[111:112]
	v_fma_f64 v[113:114], v[97:98], v[72:73], v[113:114]
	s_waitcnt vmcnt(0) lgkmcnt(0)
	v_mul_f64 v[95:96], v[105:106], v[78:79]
	v_mul_f64 v[97:98], v[103:104], v[78:79]
	v_fma_f64 v[99:100], v[99:100], v[68:69], -v[115:116]
	v_fma_f64 v[101:102], v[101:102], v[68:69], v[117:118]
	ds_read_b128 v[91:94], v84
	v_add_f64 v[115:116], v[107:108], v[109:110]
	v_add_f64 v[117:118], v[111:112], v[113:114]
	v_fma_f64 v[103:104], v[103:104], v[76:77], -v[95:96]
	v_fma_f64 v[105:106], v[105:106], v[76:77], v[97:98]
	ds_read_b128 v[95:98], v84 offset:864
	s_waitcnt lgkmcnt(1)
	v_add_f64 v[119:120], v[93:94], v[111:112]
	v_add_f64 v[121:122], v[91:92], v[107:108]
	v_add_f64 v[111:112], v[111:112], -v[113:114]
	v_add_f64 v[107:108], v[107:108], -v[109:110]
	v_fma_f64 v[115:116], v[115:116], -0.5, v[91:92]
	v_fma_f64 v[117:118], v[117:118], -0.5, v[93:94]
	v_add_f64 v[91:92], v[99:100], v[103:104]
	v_add_f64 v[93:94], v[101:102], v[105:106]
	v_add_f64 v[127:128], v[101:102], -v[105:106]
	v_add_f64 v[129:130], v[99:100], -v[103:104]
	s_waitcnt lgkmcnt(0)
	v_fma_f64 v[123:124], v[91:92], -0.5, v[95:96]
	v_fma_f64 v[125:126], v[93:94], -0.5, v[97:98]
	v_add_f64 v[97:98], v[97:98], v[101:102]
	v_add_f64 v[95:96], v[95:96], v[99:100]
	;; [unrolled: 1-line block ×4, first 2 shown]
	v_fma_f64 v[99:100], v[111:112], s[8:9], v[115:116]
	v_fma_f64 v[101:102], v[107:108], s[6:7], v[117:118]
	;; [unrolled: 1-line block ×3, first 2 shown]
	v_add_f64 v[97:98], v[97:98], v[105:106]
	v_add_f64 v[95:96], v[95:96], v[103:104]
	v_fma_f64 v[103:104], v[111:112], s[6:7], v[115:116]
	v_fma_f64 v[105:106], v[107:108], s[8:9], v[117:118]
	;; [unrolled: 1-line block ×5, first 2 shown]
	ds_write_b128 v84, v[91:94]
	ds_write_b128 v84, v[95:98] offset:864
	ds_write_b128 v84, v[99:102] offset:1728
	ds_write_b128 v84, v[103:106] offset:3456
	ds_write_b128 v84, v[107:110] offset:2592
	ds_write_b128 v84, v[111:114] offset:4320
	s_waitcnt lgkmcnt(0)
	s_barrier
	buffer_gl0_inv
	global_load_dwordx4 v[91:94], v[81:82], off offset:1088
	v_add_co_u32 v81, vcc_lo, 0x1440, v85
	v_add_co_ci_u32_e32 v82, vcc_lo, 0, v86, vcc_lo
	v_add_co_u32 v123, vcc_lo, 0x2000, v85
	v_add_co_ci_u32_e32 v124, vcc_lo, 0, v86, vcc_lo
	s_clause 0x2
	global_load_dwordx4 v[95:98], v[81:82], off offset:1728
	global_load_dwordx4 v[99:102], v[123:124], off offset:448
	;; [unrolled: 1-line block ×3, first 2 shown]
	ds_read_b128 v[107:110], v84
	ds_read_b128 v[111:114], v84 offset:864
	s_waitcnt vmcnt(3) lgkmcnt(1)
	v_mul_f64 v[81:82], v[109:110], v[93:94]
	v_mul_f64 v[93:94], v[107:108], v[93:94]
	v_fma_f64 v[107:108], v[107:108], v[91:92], -v[81:82]
	v_fma_f64 v[109:110], v[109:110], v[91:92], v[93:94]
	ds_read_b128 v[91:94], v84 offset:1728
	ds_read_b128 v[115:118], v84 offset:2592
	s_waitcnt vmcnt(2) lgkmcnt(1)
	v_mul_f64 v[81:82], v[93:94], v[97:98]
	v_mul_f64 v[97:98], v[91:92], v[97:98]
	v_fma_f64 v[91:92], v[91:92], v[95:96], -v[81:82]
	v_fma_f64 v[93:94], v[93:94], v[95:96], v[97:98]
	ds_read_b128 v[95:98], v84 offset:3456
	ds_read_b128 v[119:122], v84 offset:4320
	s_waitcnt vmcnt(1) lgkmcnt(1)
	v_mul_f64 v[81:82], v[97:98], v[101:102]
	v_mul_f64 v[101:102], v[95:96], v[101:102]
	v_fma_f64 v[95:96], v[95:96], v[99:100], -v[81:82]
	s_waitcnt vmcnt(0)
	v_mul_f64 v[81:82], v[113:114], v[105:106]
	v_fma_f64 v[97:98], v[97:98], v[99:100], v[101:102]
	v_mul_f64 v[101:102], v[111:112], v[105:106]
	v_fma_f64 v[99:100], v[111:112], v[103:104], -v[81:82]
	v_add_co_u32 v81, vcc_lo, 0x1800, v85
	v_add_co_ci_u32_e32 v82, vcc_lo, 0, v86, vcc_lo
	v_fma_f64 v[101:102], v[113:114], v[103:104], v[101:102]
	s_clause 0x1
	global_load_dwordx4 v[103:106], v[81:82], off offset:1632
	global_load_dwordx4 v[111:114], v[123:124], off offset:1312
	s_waitcnt vmcnt(1)
	v_mul_f64 v[81:82], v[117:118], v[105:106]
	v_mul_f64 v[85:86], v[115:116], v[105:106]
	v_fma_f64 v[115:116], v[115:116], v[103:104], -v[81:82]
	v_fma_f64 v[117:118], v[117:118], v[103:104], v[85:86]
	s_waitcnt vmcnt(0) lgkmcnt(0)
	v_mul_f64 v[81:82], v[121:122], v[113:114]
	v_mul_f64 v[85:86], v[119:120], v[113:114]
	v_fma_f64 v[103:104], v[119:120], v[111:112], -v[81:82]
	v_fma_f64 v[105:106], v[121:122], v[111:112], v[85:86]
	ds_write_b128 v84, v[107:110]
	ds_write_b128 v84, v[91:94] offset:1728
	ds_write_b128 v84, v[95:98] offset:3456
	;; [unrolled: 1-line block ×5, first 2 shown]
	s_waitcnt lgkmcnt(0)
	s_barrier
	buffer_gl0_inv
	ds_read_b128 v[91:94], v84 offset:3456
	ds_read_b128 v[95:98], v84 offset:1728
	ds_read_b128 v[99:102], v84
	ds_read_b128 v[103:106], v84 offset:2592
	ds_read_b128 v[107:110], v84 offset:4320
	ds_read_b128 v[111:114], v84 offset:864
	s_waitcnt lgkmcnt(0)
	s_barrier
	buffer_gl0_inv
	v_add_f64 v[81:82], v[95:96], v[91:92]
	v_add_f64 v[85:86], v[97:98], v[93:94]
	;; [unrolled: 1-line block ×4, first 2 shown]
	v_add_f64 v[119:120], v[97:98], -v[93:94]
	v_add_f64 v[97:98], v[103:104], v[107:108]
	v_add_f64 v[121:122], v[95:96], -v[91:92]
	v_add_f64 v[95:96], v[105:106], v[109:110]
	v_add_f64 v[123:124], v[105:106], -v[109:110]
	v_add_f64 v[125:126], v[103:104], -v[107:108]
	v_fma_f64 v[81:82], v[81:82], -0.5, v[99:100]
	v_fma_f64 v[85:86], v[85:86], -0.5, v[101:102]
	v_add_f64 v[99:100], v[111:112], v[103:104]
	v_add_f64 v[101:102], v[113:114], v[105:106]
	;; [unrolled: 1-line block ×3, first 2 shown]
	v_fma_f64 v[111:112], v[97:98], -0.5, v[111:112]
	v_add_f64 v[93:94], v[117:118], v[93:94]
	v_fma_f64 v[113:114], v[95:96], -0.5, v[113:114]
	v_fma_f64 v[103:104], v[119:120], s[8:9], v[81:82]
	v_fma_f64 v[105:106], v[121:122], s[6:7], v[85:86]
	v_add_f64 v[95:96], v[99:100], v[107:108]
	v_add_f64 v[97:98], v[101:102], v[109:110]
	v_fma_f64 v[99:100], v[119:120], s[6:7], v[81:82]
	v_fma_f64 v[101:102], v[121:122], s[8:9], v[85:86]
	;; [unrolled: 1-line block ×6, first 2 shown]
	ds_write_b128 v88, v[91:94]
	ds_write_b128 v88, v[99:102] offset:16
	ds_write_b128 v88, v[103:106] offset:32
	ds_write_b128 v87, v[95:98]
	ds_write_b128 v87, v[107:110] offset:16
	ds_write_b128 v87, v[111:114] offset:32
	s_waitcnt lgkmcnt(0)
	s_barrier
	buffer_gl0_inv
	ds_read_b128 v[85:88], v84 offset:2592
	ds_read_b128 v[91:94], v84 offset:4320
	;; [unrolled: 1-line block ×5, first 2 shown]
	ds_read_b128 v[107:110], v84
	s_waitcnt lgkmcnt(0)
	s_barrier
	buffer_gl0_inv
	v_mul_f64 v[81:82], v[38:39], v[85:86]
	v_mul_f64 v[111:112], v[46:47], v[91:92]
	;; [unrolled: 1-line block ×6, first 2 shown]
	v_fma_f64 v[81:82], v[36:37], v[87:88], -v[81:82]
	v_fma_f64 v[87:88], v[44:45], v[93:94], -v[111:112]
	v_mul_f64 v[93:94], v[30:31], v[101:102]
	v_fma_f64 v[36:37], v[36:37], v[85:86], v[38:39]
	v_mul_f64 v[30:31], v[30:31], v[99:100]
	v_mul_f64 v[38:39], v[26:27], v[105:106]
	v_mul_f64 v[26:27], v[26:27], v[103:104]
	v_fma_f64 v[44:45], v[44:45], v[91:92], v[46:47]
	v_fma_f64 v[46:47], v[32:33], v[97:98], -v[113:114]
	v_fma_f64 v[32:33], v[32:33], v[95:96], v[34:35]
	v_add_f64 v[85:86], v[81:82], v[87:88]
	v_fma_f64 v[34:35], v[28:29], v[99:100], v[93:94]
	v_add_f64 v[95:96], v[81:82], -v[87:88]
	v_fma_f64 v[28:29], v[28:29], v[101:102], -v[30:31]
	v_fma_f64 v[30:31], v[24:25], v[103:104], v[38:39]
	v_fma_f64 v[24:25], v[24:25], v[105:106], -v[26:27]
	v_add_f64 v[26:27], v[36:37], v[44:45]
	v_add_f64 v[38:39], v[36:37], -v[44:45]
	v_fma_f64 v[85:86], v[85:86], -0.5, v[46:47]
	v_add_f64 v[99:100], v[109:110], v[28:29]
	v_add_f64 v[91:92], v[34:35], v[30:31]
	;; [unrolled: 1-line block ×3, first 2 shown]
	v_fma_f64 v[26:27], v[26:27], -0.5, v[32:33]
	v_add_f64 v[32:33], v[32:33], v[36:37]
	v_add_f64 v[36:37], v[46:47], v[81:82]
	v_add_f64 v[28:29], v[28:29], -v[24:25]
	v_fma_f64 v[97:98], v[38:39], s[8:9], v[85:86]
	v_fma_f64 v[38:39], v[38:39], s[6:7], v[85:86]
	v_add_f64 v[85:86], v[107:108], v[34:35]
	v_add_f64 v[34:35], v[34:35], -v[30:31]
	v_fma_f64 v[46:47], v[91:92], -0.5, v[107:108]
	v_fma_f64 v[81:82], v[93:94], -0.5, v[109:110]
	v_fma_f64 v[91:92], v[95:96], s[6:7], v[26:27]
	v_fma_f64 v[26:27], v[95:96], s[8:9], v[26:27]
	v_add_f64 v[32:33], v[32:33], v[44:45]
	v_add_f64 v[36:37], v[36:37], v[87:88]
	v_mul_f64 v[93:94], v[97:98], s[6:7]
	v_mul_f64 v[97:98], v[97:98], 0.5
	v_mul_f64 v[95:96], v[38:39], s[6:7]
	v_mul_f64 v[38:39], v[38:39], -0.5
	v_add_f64 v[30:31], v[85:86], v[30:31]
	v_add_f64 v[85:86], v[99:100], v[24:25]
	v_fma_f64 v[44:45], v[28:29], s[6:7], v[46:47]
	v_fma_f64 v[87:88], v[34:35], s[8:9], v[81:82]
	;; [unrolled: 1-line block ×3, first 2 shown]
	v_fma_f64 v[93:94], v[91:92], 0.5, v[93:94]
	v_fma_f64 v[91:92], v[91:92], s[8:9], v[97:98]
	v_fma_f64 v[97:98], v[28:29], s[8:9], v[46:47]
	v_fma_f64 v[95:96], v[26:27], -0.5, v[95:96]
	v_fma_f64 v[99:100], v[26:27], s[8:9], v[38:39]
	v_add_f64 v[24:25], v[30:31], v[32:33]
	v_add_f64 v[26:27], v[85:86], v[36:37]
	v_add_f64 v[28:29], v[30:31], -v[32:33]
	v_add_f64 v[30:31], v[85:86], -v[36:37]
	v_add_f64 v[32:33], v[44:45], v[93:94]
	v_add_f64 v[34:35], v[87:88], v[91:92]
	v_add_f64 v[36:37], v[44:45], -v[93:94]
	v_add_f64 v[44:45], v[97:98], v[95:96]
	v_add_f64 v[46:47], v[81:82], v[99:100]
	v_add_f64 v[38:39], v[87:88], -v[91:92]
	v_add_f64 v[85:86], v[97:98], -v[95:96]
	;; [unrolled: 1-line block ×3, first 2 shown]
	ds_write_b128 v90, v[24:27]
	ds_write_b128 v90, v[28:31] offset:144
	ds_write_b128 v90, v[32:35] offset:48
	;; [unrolled: 1-line block ×5, first 2 shown]
	s_waitcnt lgkmcnt(0)
	s_barrier
	buffer_gl0_inv
	ds_read_b128 v[24:27], v84 offset:2592
	ds_read_b128 v[28:31], v84 offset:4320
	;; [unrolled: 1-line block ×5, first 2 shown]
	ds_read_b128 v[85:88], v84
	s_waitcnt lgkmcnt(0)
	s_barrier
	buffer_gl0_inv
	v_mul_f64 v[81:82], v[42:43], v[24:25]
	v_mul_f64 v[90:91], v[62:63], v[28:29]
	;; [unrolled: 1-line block ×6, first 2 shown]
	v_fma_f64 v[26:27], v[40:41], v[26:27], -v[81:82]
	v_fma_f64 v[30:31], v[60:61], v[30:31], -v[90:91]
	v_mul_f64 v[81:82], v[54:55], v[34:35]
	v_mul_f64 v[54:55], v[54:55], v[32:33]
	v_mul_f64 v[90:91], v[50:51], v[38:39]
	v_mul_f64 v[50:51], v[50:51], v[36:37]
	v_fma_f64 v[24:25], v[40:41], v[24:25], v[42:43]
	v_fma_f64 v[28:29], v[60:61], v[28:29], v[62:63]
	v_fma_f64 v[40:41], v[56:57], v[46:47], -v[92:93]
	v_fma_f64 v[44:45], v[56:57], v[44:45], v[58:59]
	v_add_f64 v[42:43], v[26:27], v[30:31]
	v_fma_f64 v[32:33], v[52:53], v[32:33], v[81:82]
	v_fma_f64 v[34:35], v[52:53], v[34:35], -v[54:55]
	v_fma_f64 v[36:37], v[48:49], v[36:37], v[90:91]
	v_fma_f64 v[38:39], v[48:49], v[38:39], -v[50:51]
	v_add_f64 v[54:55], v[26:27], -v[30:31]
	v_add_f64 v[46:47], v[24:25], v[28:29]
	v_add_f64 v[48:49], v[24:25], -v[28:29]
	v_add_f64 v[24:25], v[44:45], v[24:25]
	v_add_f64 v[26:27], v[40:41], v[26:27]
	v_fma_f64 v[42:43], v[42:43], -0.5, v[40:41]
	v_add_f64 v[58:59], v[87:88], v[34:35]
	v_add_f64 v[50:51], v[32:33], v[36:37]
	;; [unrolled: 1-line block ×3, first 2 shown]
	v_add_f64 v[34:35], v[34:35], -v[38:39]
	v_fma_f64 v[46:47], v[46:47], -0.5, v[44:45]
	v_add_f64 v[28:29], v[24:25], v[28:29]
	v_add_f64 v[30:31], v[26:27], v[30:31]
	v_fma_f64 v[56:57], v[48:49], s[8:9], v[42:43]
	v_fma_f64 v[42:43], v[48:49], s[6:7], v[42:43]
	v_add_f64 v[48:49], v[85:86], v[32:33]
	v_add_f64 v[32:33], v[32:33], -v[36:37]
	v_fma_f64 v[40:41], v[50:51], -0.5, v[85:86]
	v_fma_f64 v[44:45], v[52:53], -0.5, v[87:88]
	v_fma_f64 v[50:51], v[54:55], s[6:7], v[46:47]
	v_fma_f64 v[46:47], v[54:55], s[8:9], v[46:47]
	v_add_f64 v[38:39], v[58:59], v[38:39]
	v_mul_f64 v[52:53], v[56:57], s[6:7]
	v_mul_f64 v[56:57], v[56:57], 0.5
	v_mul_f64 v[54:55], v[42:43], s[6:7]
	v_mul_f64 v[42:43], v[42:43], -0.5
	v_add_f64 v[36:37], v[48:49], v[36:37]
	v_fma_f64 v[48:49], v[34:35], s[6:7], v[40:41]
	v_fma_f64 v[58:59], v[32:33], s[8:9], v[44:45]
	;; [unrolled: 1-line block ×3, first 2 shown]
	v_add_f64 v[26:27], v[38:39], v[30:31]
	v_add_f64 v[30:31], v[38:39], -v[30:31]
	v_fma_f64 v[52:53], v[50:51], 0.5, v[52:53]
	v_fma_f64 v[50:51], v[50:51], s[8:9], v[56:57]
	v_fma_f64 v[56:57], v[34:35], s[8:9], v[40:41]
	v_fma_f64 v[44:45], v[46:47], -0.5, v[54:55]
	v_fma_f64 v[46:47], v[46:47], s[8:9], v[42:43]
	v_add_f64 v[24:25], v[36:37], v[28:29]
	v_add_f64 v[28:29], v[36:37], -v[28:29]
	v_add_f64 v[32:33], v[48:49], v[52:53]
	v_add_f64 v[34:35], v[58:59], v[50:51]
	v_add_f64 v[36:37], v[48:49], -v[52:53]
	v_add_f64 v[40:41], v[56:57], v[44:45]
	v_add_f64 v[42:43], v[60:61], v[46:47]
	v_add_f64 v[38:39], v[58:59], -v[50:51]
	v_add_f64 v[44:45], v[56:57], -v[44:45]
	;; [unrolled: 1-line block ×3, first 2 shown]
	ds_write_b128 v89, v[24:27]
	ds_write_b128 v89, v[28:31] offset:864
	ds_write_b128 v89, v[32:35] offset:288
	ds_write_b128 v89, v[40:43] offset:576
	ds_write_b128 v89, v[36:39] offset:1152
	ds_write_b128 v89, v[44:47] offset:1440
	s_waitcnt lgkmcnt(0)
	s_barrier
	buffer_gl0_inv
	ds_read_b128 v[24:27], v84 offset:1728
	ds_read_b128 v[28:31], v84 offset:3456
	;; [unrolled: 1-line block ×4, first 2 shown]
	s_waitcnt lgkmcnt(3)
	v_mul_f64 v[40:41], v[66:67], v[26:27]
	s_waitcnt lgkmcnt(2)
	v_mul_f64 v[42:43], v[74:75], v[30:31]
	v_mul_f64 v[44:45], v[66:67], v[24:25]
	;; [unrolled: 1-line block ×3, first 2 shown]
	s_waitcnt lgkmcnt(1)
	v_mul_f64 v[48:49], v[70:71], v[34:35]
	s_waitcnt lgkmcnt(0)
	v_mul_f64 v[50:51], v[78:79], v[38:39]
	v_mul_f64 v[52:53], v[70:71], v[32:33]
	;; [unrolled: 1-line block ×3, first 2 shown]
	v_fma_f64 v[40:41], v[64:65], v[24:25], v[40:41]
	v_fma_f64 v[42:43], v[72:73], v[28:29], v[42:43]
	v_fma_f64 v[44:45], v[64:65], v[26:27], -v[44:45]
	v_fma_f64 v[46:47], v[72:73], v[30:31], -v[46:47]
	v_fma_f64 v[32:33], v[68:69], v[32:33], v[48:49]
	v_fma_f64 v[36:37], v[76:77], v[36:37], v[50:51]
	v_fma_f64 v[34:35], v[68:69], v[34:35], -v[52:53]
	v_fma_f64 v[38:39], v[76:77], v[38:39], -v[54:55]
	ds_read_b128 v[24:27], v84
	ds_read_b128 v[28:31], v84 offset:864
	v_add_f64 v[48:49], v[40:41], v[42:43]
	v_add_f64 v[50:51], v[44:45], v[46:47]
	;; [unrolled: 1-line block ×3, first 2 shown]
	s_waitcnt lgkmcnt(1)
	v_add_f64 v[56:57], v[24:25], v[40:41]
	v_add_f64 v[54:55], v[34:35], v[38:39]
	;; [unrolled: 1-line block ×3, first 2 shown]
	s_waitcnt lgkmcnt(0)
	v_add_f64 v[60:61], v[28:29], v[32:33]
	v_add_f64 v[62:63], v[30:31], v[34:35]
	v_add_f64 v[44:45], v[44:45], -v[46:47]
	v_add_f64 v[40:41], v[40:41], -v[42:43]
	;; [unrolled: 1-line block ×4, first 2 shown]
	v_fma_f64 v[48:49], v[48:49], -0.5, v[24:25]
	v_fma_f64 v[50:51], v[50:51], -0.5, v[26:27]
	;; [unrolled: 1-line block ×3, first 2 shown]
	v_add_f64 v[24:25], v[56:57], v[42:43]
	v_fma_f64 v[54:55], v[54:55], -0.5, v[30:31]
	v_add_f64 v[26:27], v[58:59], v[46:47]
	v_add_f64 v[28:29], v[60:61], v[36:37]
	;; [unrolled: 1-line block ×3, first 2 shown]
	v_fma_f64 v[32:33], v[44:45], s[6:7], v[48:49]
	v_fma_f64 v[36:37], v[44:45], s[8:9], v[48:49]
	;; [unrolled: 1-line block ×8, first 2 shown]
	v_mad_u64_u32 v[50:51], null, s0, v83, 0
	v_mad_u64_u32 v[48:49], null, s2, v80, 0
	ds_write_b128 v84, v[24:27]
	ds_write_b128 v84, v[28:31] offset:864
	ds_write_b128 v84, v[32:35] offset:1728
	;; [unrolled: 1-line block ×5, first 2 shown]
	s_waitcnt lgkmcnt(0)
	s_barrier
	buffer_gl0_inv
	ds_read_b128 v[24:27], v84
	v_mov_b32_e32 v44, v51
	ds_read_b128 v[28:31], v84 offset:1728
	ds_read_b128 v[32:35], v84 offset:3456
	v_mad_u64_u32 v[51:52], null, s3, v80, v[49:50]
	ds_read_b128 v[36:39], v84 offset:864
	ds_read_b128 v[40:43], v84 offset:2592
	v_mad_u64_u32 v[52:53], null, s1, v83, v[44:45]
	ds_read_b128 v[44:47], v84 offset:4320
	s_load_dwordx2 s[2:3], s[4:5], 0x38
	s_mul_i32 s4, s1, 0x6c0
	v_mov_b32_e32 v49, v51
	s_mul_hi_u32 s5, s0, 0x6c0
	s_mul_i32 s6, s0, 0x6c0
	v_mov_b32_e32 v51, v52
	s_add_i32 s5, s5, s4
	v_lshlrev_b64 v[48:49], 4, v[48:49]
	s_mulk_i32 s1, 0xf5e0
	v_lshlrev_b64 v[50:51], 4, v[50:51]
	s_waitcnt lgkmcnt(0)
	v_mul_f64 v[52:53], v[6:7], v[26:27]
	v_mul_f64 v[6:7], v[6:7], v[24:25]
	;; [unrolled: 1-line block ×12, first 2 shown]
	v_add_co_u32 v48, vcc_lo, s2, v48
	v_add_co_ci_u32_e32 v49, vcc_lo, s3, v49, vcc_lo
	s_mov_b32 s2, 0xfcd6e9e0
	v_add_co_u32 v48, vcc_lo, v48, v50
	v_add_co_ci_u32_e32 v49, vcc_lo, v49, v51, vcc_lo
	s_mov_b32 s3, 0x3f6948b0
	v_fma_f64 v[24:25], v[4:5], v[24:25], v[52:53]
	v_fma_f64 v[4:5], v[4:5], v[26:27], -v[6:7]
	v_fma_f64 v[6:7], v[0:1], v[28:29], v[54:55]
	v_fma_f64 v[26:27], v[0:1], v[30:31], -v[2:3]
	;; [unrolled: 2-line block ×6, first 2 shown]
	v_add_co_u32 v36, vcc_lo, v48, s6
	v_add_co_ci_u32_e32 v37, vcc_lo, s5, v49, vcc_lo
	v_add_co_u32 v38, vcc_lo, v36, s6
	v_add_co_ci_u32_e32 v39, vcc_lo, s5, v37, vcc_lo
	v_mul_f64 v[0:1], v[24:25], s[2:3]
	v_mul_f64 v[2:3], v[4:5], s[2:3]
	v_mul_f64 v[4:5], v[6:7], s[2:3]
	v_mul_f64 v[6:7], v[26:27], s[2:3]
	v_mul_f64 v[8:9], v[28:29], s[2:3]
	v_mul_f64 v[10:11], v[12:13], s[2:3]
	v_mul_f64 v[12:13], v[14:15], s[2:3]
	v_mul_f64 v[14:15], v[30:31], s[2:3]
	v_mad_u64_u32 v[40:41], null, 0xfffff5e0, s0, v[38:39]
	v_mul_f64 v[16:17], v[32:33], s[2:3]
	v_mul_f64 v[18:19], v[18:19], s[2:3]
	;; [unrolled: 1-line block ×4, first 2 shown]
	s_sub_i32 s0, s1, s0
	v_add_nc_u32_e32 v41, s0, v41
	v_add_co_u32 v24, vcc_lo, v40, s6
	v_add_co_ci_u32_e32 v25, vcc_lo, s5, v41, vcc_lo
	v_add_co_u32 v26, vcc_lo, v24, s6
	v_add_co_ci_u32_e32 v27, vcc_lo, s5, v25, vcc_lo
	global_store_dwordx4 v[48:49], v[0:3], off
	global_store_dwordx4 v[36:37], v[4:7], off
	;; [unrolled: 1-line block ×6, first 2 shown]
.LBB0_2:
	s_endpgm
	.section	.rodata,"a",@progbits
	.p2align	6, 0x0
	.amdhsa_kernel bluestein_single_fwd_len324_dim1_dp_op_CI_CI
		.amdhsa_group_segment_fixed_size 5184
		.amdhsa_private_segment_fixed_size 0
		.amdhsa_kernarg_size 104
		.amdhsa_user_sgpr_count 6
		.amdhsa_user_sgpr_private_segment_buffer 1
		.amdhsa_user_sgpr_dispatch_ptr 0
		.amdhsa_user_sgpr_queue_ptr 0
		.amdhsa_user_sgpr_kernarg_segment_ptr 1
		.amdhsa_user_sgpr_dispatch_id 0
		.amdhsa_user_sgpr_flat_scratch_init 0
		.amdhsa_user_sgpr_private_segment_size 0
		.amdhsa_wavefront_size32 1
		.amdhsa_uses_dynamic_stack 0
		.amdhsa_system_sgpr_private_segment_wavefront_offset 0
		.amdhsa_system_sgpr_workgroup_id_x 1
		.amdhsa_system_sgpr_workgroup_id_y 0
		.amdhsa_system_sgpr_workgroup_id_z 0
		.amdhsa_system_sgpr_workgroup_info 0
		.amdhsa_system_vgpr_workitem_id 0
		.amdhsa_next_free_vgpr 131
		.amdhsa_next_free_sgpr 20
		.amdhsa_reserve_vcc 1
		.amdhsa_reserve_flat_scratch 0
		.amdhsa_float_round_mode_32 0
		.amdhsa_float_round_mode_16_64 0
		.amdhsa_float_denorm_mode_32 3
		.amdhsa_float_denorm_mode_16_64 3
		.amdhsa_dx10_clamp 1
		.amdhsa_ieee_mode 1
		.amdhsa_fp16_overflow 0
		.amdhsa_workgroup_processor_mode 1
		.amdhsa_memory_ordered 1
		.amdhsa_forward_progress 0
		.amdhsa_shared_vgpr_count 0
		.amdhsa_exception_fp_ieee_invalid_op 0
		.amdhsa_exception_fp_denorm_src 0
		.amdhsa_exception_fp_ieee_div_zero 0
		.amdhsa_exception_fp_ieee_overflow 0
		.amdhsa_exception_fp_ieee_underflow 0
		.amdhsa_exception_fp_ieee_inexact 0
		.amdhsa_exception_int_div_zero 0
	.end_amdhsa_kernel
	.text
.Lfunc_end0:
	.size	bluestein_single_fwd_len324_dim1_dp_op_CI_CI, .Lfunc_end0-bluestein_single_fwd_len324_dim1_dp_op_CI_CI
                                        ; -- End function
	.section	.AMDGPU.csdata,"",@progbits
; Kernel info:
; codeLenInByte = 6500
; NumSgprs: 22
; NumVgprs: 131
; ScratchSize: 0
; MemoryBound: 0
; FloatMode: 240
; IeeeMode: 1
; LDSByteSize: 5184 bytes/workgroup (compile time only)
; SGPRBlocks: 2
; VGPRBlocks: 16
; NumSGPRsForWavesPerEU: 22
; NumVGPRsForWavesPerEU: 131
; Occupancy: 7
; WaveLimiterHint : 1
; COMPUTE_PGM_RSRC2:SCRATCH_EN: 0
; COMPUTE_PGM_RSRC2:USER_SGPR: 6
; COMPUTE_PGM_RSRC2:TRAP_HANDLER: 0
; COMPUTE_PGM_RSRC2:TGID_X_EN: 1
; COMPUTE_PGM_RSRC2:TGID_Y_EN: 0
; COMPUTE_PGM_RSRC2:TGID_Z_EN: 0
; COMPUTE_PGM_RSRC2:TIDIG_COMP_CNT: 0
	.text
	.p2alignl 6, 3214868480
	.fill 48, 4, 3214868480
	.type	__hip_cuid_99db1cd3d548e0a7,@object ; @__hip_cuid_99db1cd3d548e0a7
	.section	.bss,"aw",@nobits
	.globl	__hip_cuid_99db1cd3d548e0a7
__hip_cuid_99db1cd3d548e0a7:
	.byte	0                               ; 0x0
	.size	__hip_cuid_99db1cd3d548e0a7, 1

	.ident	"AMD clang version 19.0.0git (https://github.com/RadeonOpenCompute/llvm-project roc-6.4.0 25133 c7fe45cf4b819c5991fe208aaa96edf142730f1d)"
	.section	".note.GNU-stack","",@progbits
	.addrsig
	.addrsig_sym __hip_cuid_99db1cd3d548e0a7
	.amdgpu_metadata
---
amdhsa.kernels:
  - .args:
      - .actual_access:  read_only
        .address_space:  global
        .offset:         0
        .size:           8
        .value_kind:     global_buffer
      - .actual_access:  read_only
        .address_space:  global
        .offset:         8
        .size:           8
        .value_kind:     global_buffer
      - .actual_access:  read_only
        .address_space:  global
        .offset:         16
        .size:           8
        .value_kind:     global_buffer
      - .actual_access:  read_only
        .address_space:  global
        .offset:         24
        .size:           8
        .value_kind:     global_buffer
      - .actual_access:  read_only
        .address_space:  global
        .offset:         32
        .size:           8
        .value_kind:     global_buffer
      - .offset:         40
        .size:           8
        .value_kind:     by_value
      - .address_space:  global
        .offset:         48
        .size:           8
        .value_kind:     global_buffer
      - .address_space:  global
        .offset:         56
        .size:           8
        .value_kind:     global_buffer
      - .address_space:  global
        .offset:         64
        .size:           8
        .value_kind:     global_buffer
      - .address_space:  global
        .offset:         72
        .size:           8
        .value_kind:     global_buffer
      - .offset:         80
        .size:           4
        .value_kind:     by_value
      - .address_space:  global
        .offset:         88
        .size:           8
        .value_kind:     global_buffer
      - .address_space:  global
        .offset:         96
        .size:           8
        .value_kind:     global_buffer
    .group_segment_fixed_size: 5184
    .kernarg_segment_align: 8
    .kernarg_segment_size: 104
    .language:       OpenCL C
    .language_version:
      - 2
      - 0
    .max_flat_workgroup_size: 54
    .name:           bluestein_single_fwd_len324_dim1_dp_op_CI_CI
    .private_segment_fixed_size: 0
    .sgpr_count:     22
    .sgpr_spill_count: 0
    .symbol:         bluestein_single_fwd_len324_dim1_dp_op_CI_CI.kd
    .uniform_work_group_size: 1
    .uses_dynamic_stack: false
    .vgpr_count:     131
    .vgpr_spill_count: 0
    .wavefront_size: 32
    .workgroup_processor_mode: 1
amdhsa.target:   amdgcn-amd-amdhsa--gfx1030
amdhsa.version:
  - 1
  - 2
...

	.end_amdgpu_metadata
